;; amdgpu-corpus repo=zjin-lcf/HeCBench kind=compiled arch=gfx906 opt=O3
	.amdgcn_target "amdgcn-amd-amdhsa--gfx906"
	.amdhsa_code_object_version 6
	.section	.text._Z17fused_4bit_kernelIfLi64EEvPT_PKS0_S1_S1_PaS4_fffffflffffff,"axG",@progbits,_Z17fused_4bit_kernelIfLi64EEvPT_PKS0_S1_S1_PaS4_fffffflffffff,comdat
	.protected	_Z17fused_4bit_kernelIfLi64EEvPT_PKS0_S1_S1_PaS4_fffffflffffff ; -- Begin function _Z17fused_4bit_kernelIfLi64EEvPT_PKS0_S1_S1_PaS4_fffffflffffff
	.globl	_Z17fused_4bit_kernelIfLi64EEvPT_PKS0_S1_S1_PaS4_fffffflffffff
	.p2align	8
	.type	_Z17fused_4bit_kernelIfLi64EEvPT_PKS0_S1_S1_PaS4_fffffflffffff,@function
_Z17fused_4bit_kernelIfLi64EEvPT_PKS0_S1_S1_PaS4_fffffflffffff: ; @_Z17fused_4bit_kernelIfLi64EEvPT_PKS0_S1_S1_PaS4_fffffflffffff
; %bb.0:
	s_load_dword s2, s[4:5], 0x74
	s_load_dwordx2 s[0:1], s[4:5], 0x48
	v_mov_b32_e32 v4, 0
	s_waitcnt lgkmcnt(0)
	s_and_b32 s2, s2, 0xffff
	s_mul_i32 s2, s6, s2
	v_add_u32_e32 v3, s2, v0
	v_cmp_gt_i64_e32 vcc, s[0:1], v[3:4]
	s_and_saveexec_b64 s[0:1], vcc
	s_cbranch_execz .LBB0_24
; %bb.1:
	s_load_dwordx4 s[0:3], s[4:5], 0x20
	s_load_dwordx2 s[16:17], s[4:5], 0x30
	s_load_dwordx8 s[8:15], s[4:5], 0x0
	v_lshlrev_b64 v[5:6], 3, v[3:4]
	s_mov_b32 s7, 0
	s_waitcnt lgkmcnt(0)
	v_mov_b32_e32 v2, s3
	v_add_co_u32_e32 v1, vcc, s2, v3
	v_addc_co_u32_e32 v2, vcc, 0, v2, vcc
	global_load_ubyte v9, v[1:2], off
	s_lshl_b64 s[20:21], s[6:7], 2
	v_mov_b32_e32 v4, s11
	s_add_u32 s6, s12, s20
	v_add_co_u32_e32 v7, vcc, s10, v5
	v_mov_b32_e32 v11, 2
	v_addc_co_u32_e32 v8, vcc, v4, v6, vcc
	s_addc_u32 s7, s13, s21
	s_getpc_b64 s[2:3]
	s_add_u32 s2, s2, _ZL8_sq_qmap@rel32@lo+4
	s_addc_u32 s3, s3, _ZL8_sq_qmap@rel32@hi+12
	global_load_dwordx2 v[7:8], v[7:8], off
	v_add_co_u32_e32 v3, vcc, s0, v3
	s_getpc_b64 s[18:19]
	s_add_u32 s18, s18, _ZL9_exp_qmap@rel32@lo+4
	s_addc_u32 s19, s19, _ZL9_exp_qmap@rel32@hi+12
	s_add_u32 s10, s14, s20
	s_addc_u32 s11, s15, s21
	s_mov_b32 s21, 0xf800000
	s_load_dwordx4 s[12:15], s[4:5], 0x54
	s_waitcnt vmcnt(1)
	v_and_b32_e32 v4, 15, v9
	v_lshlrev_b32_sdwa v4, v11, v4 dst_sel:DWORD dst_unused:UNUSED_PAD src0_sel:DWORD src1_sel:WORD_0
	global_load_dword v10, v4, s[2:3]
	v_mov_b32_e32 v4, s1
	v_addc_co_u32_e32 v4, vcc, 0, v4, vcc
	global_load_ubyte v13, v[3:4], off
	s_load_dword s22, s[10:11], 0x0
	s_load_dword s20, s[4:5], 0x64
	v_lshrrev_b16_e32 v9, 4, v9
	v_lshlrev_b32_e32 v9, 2, v9
	s_waitcnt vmcnt(2)
	v_mul_f32_e32 v12, v7, v7
	s_waitcnt vmcnt(1) lgkmcnt(0)
	v_mul_f32_e32 v10, s22, v10
	v_mul_f32_e32 v10, s17, v10
	v_fmac_f32_e32 v10, s20, v12
	v_mul_f32_e32 v12, 0x4f800000, v10
	v_cmp_gt_f32_e32 vcc, s21, v10
	v_cndmask_b32_e32 v14, v10, v12, vcc
	v_sqrt_f32_e32 v15, v14
	v_mov_b32_e32 v12, 0x260
	v_add_u32_e32 v16, -1, v15
	v_add_u32_e32 v17, 1, v15
	v_fma_f32 v18, -v16, v15, v14
	v_fma_f32 v19, -v17, v15, v14
	v_cmp_ge_f32_e64 s[0:1], 0, v18
	v_cndmask_b32_e64 v15, v15, v16, s[0:1]
	v_cmp_lt_f32_e64 s[0:1], 0, v19
	v_cndmask_b32_e64 v15, v15, v17, s[0:1]
	v_mul_f32_e32 v16, 0x37800000, v15
	v_cndmask_b32_e32 v15, v15, v16, vcc
	v_cmp_class_f32_e32 vcc, v14, v12
	v_cndmask_b32_e32 v14, v15, v14, vcc
	v_div_scale_f32 v15, s[0:1], s12, s12, v14
	v_div_scale_f32 v16, vcc, v14, s12, v14
	v_mov_b32_e32 v17, s9
	v_add_co_u32_e64 v5, s[0:1], s8, v5
	v_addc_co_u32_e64 v6, s[0:1], v17, v6, s[0:1]
	v_mbcnt_lo_u32_b32 v17, -1, 0
	v_bfrev_b32_e32 v18, 0.5
	v_mbcnt_hi_u32_b32 v17, -1, v17
	v_lshl_or_b32 v17, v17, 2, v18
	s_waitcnt vmcnt(0)
	v_and_b32_e32 v18, 15, v13
	v_lshlrev_b32_sdwa v11, v11, v18 dst_sel:DWORD dst_unused:UNUSED_PAD src0_sel:DWORD src1_sel:WORD_0
	v_lshrrev_b16_e32 v13, 4, v13
	v_rcp_f32_e32 v19, v15
	v_lshlrev_b32_e32 v13, 2, v13
	v_fma_f32 v18, -v15, v19, 1.0
	v_fmac_f32_e32 v19, v18, v19
	v_mul_f32_e32 v18, v16, v19
	v_fma_f32 v20, -v15, v18, v16
	v_fmac_f32_e32 v18, v20, v19
	global_load_dword v20, v11, s[18:19]
	global_load_dword v21, v13, s[18:19]
	;; [unrolled: 1-line block ×3, first 2 shown]
	s_load_dword s0, s[6:7], 0x0
	s_load_dword s8, s[4:5], 0x40
	v_fma_f32 v9, -v15, v18, v16
	v_mul_f32_e32 v15, v8, v8
	s_waitcnt vmcnt(2) lgkmcnt(0)
	v_mul_f32_e32 v11, s0, v20
	s_waitcnt vmcnt(1)
	v_mul_f32_e32 v16, s0, v21
	v_mul_f32_e32 v13, s16, v11
	;; [unrolled: 1-line block ×3, first 2 shown]
	v_div_fmas_f32 v16, v9, v19, v18
	s_waitcnt vmcnt(0)
	v_mul_f32_e32 v20, s22, v22
	v_mul_f32_e32 v9, s17, v20
	v_fmac_f32_e32 v9, s20, v15
	v_fmac_f32_e32 v13, s15, v7
	v_mul_f32_e32 v7, 0x4f800000, v9
	v_cmp_gt_f32_e32 vcc, s21, v9
	v_cndmask_b32_e32 v7, v9, v7, vcc
	v_fmac_f32_e32 v11, s15, v8
	v_sqrt_f32_e32 v15, v7
	v_max_f32_e32 v8, v13, v11
	v_div_fixup_f32 v14, v16, s12, v14
	v_add_f32_e32 v16, s8, v14
	v_mov_b32_dpp v18, v8 quad_perm:[1,0,3,2] row_mask:0xf bank_mask:0xf bound_ctrl:1
	v_div_scale_f32 v14, s[2:3], v16, v16, v13
	v_cmp_gt_f32_e64 s[0:1], v8, v18
	v_cndmask_b32_e64 v8, v18, v8, s[0:1]
	v_add_u32_e32 v18, -1, v15
	v_fma_f32 v19, -v18, v15, v7
	v_cmp_ge_f32_e64 s[0:1], 0, v19
	v_add_u32_e32 v19, 1, v15
	v_cndmask_b32_e64 v18, v15, v18, s[0:1]
	v_fma_f32 v15, -v19, v15, v7
	v_cmp_lt_f32_e64 s[0:1], 0, v15
	v_div_scale_f32 v15, s[2:3], v13, v16, v13
	v_cndmask_b32_e64 v18, v18, v19, s[0:1]
	v_mul_f32_e32 v19, 0x37800000, v18
	v_cndmask_b32_e32 v18, v18, v19, vcc
	v_rcp_f32_e32 v19, v14
	v_cmp_class_f32_e32 vcc, v7, v12
	v_cndmask_b32_e32 v7, v18, v7, vcc
	s_mov_b64 vcc, s[2:3]
	v_fma_f32 v12, -v14, v19, 1.0
	v_fmac_f32_e32 v19, v12, v19
	v_mul_f32_e32 v12, v15, v19
	v_fma_f32 v18, -v14, v12, v15
	v_fmac_f32_e32 v12, v18, v19
	v_div_scale_f32 v18, s[0:1], s12, s12, v7
	v_fma_f32 v14, -v14, v12, v15
	v_div_fmas_f32 v12, v14, v19, v12
	v_max_f32_e32 v15, v10, v9
	v_rcp_f32_e32 v14, v18
	s_nop 0
	v_mov_b32_dpp v19, v15 quad_perm:[1,0,3,2] row_mask:0xf bank_mask:0xf bound_ctrl:1
	v_cmp_gt_f32_e32 vcc, v15, v19
	v_cndmask_b32_e32 v15, v19, v15, vcc
	v_fma_f32 v19, -v18, v14, 1.0
	v_fmac_f32_e32 v14, v19, v14
	v_div_scale_f32 v19, vcc, v7, s12, v7
	v_div_fixup_f32 v12, v12, v16, v13
	v_mul_f32_e32 v12, s13, v12
	v_mul_f32_e32 v20, v19, v14
	v_fma_f32 v21, -v18, v20, v19
	v_fmac_f32_e32 v20, v21, v14
	v_fma_f32 v18, -v18, v20, v19
	v_div_fmas_f32 v14, v18, v14, v20
	v_mov_b32_dpp v19, v15 quad_perm:[2,3,0,1] row_mask:0xf bank_mask:0xf bound_ctrl:1
	v_mov_b32_dpp v18, v8 quad_perm:[2,3,0,1] row_mask:0xf bank_mask:0xf bound_ctrl:1
	v_cmp_gt_f32_e32 vcc, v8, v18
	v_cndmask_b32_e32 v8, v18, v8, vcc
	v_cmp_gt_f32_e32 vcc, v15, v19
	v_cndmask_b32_e32 v15, v19, v15, vcc
	v_mov_b32_dpp v18, v8 row_ror:4 row_mask:0xf bank_mask:0xf bound_ctrl:1
	v_cmp_gt_f32_e32 vcc, v8, v18
	v_mov_b32_dpp v19, v15 row_ror:4 row_mask:0xf bank_mask:0xf bound_ctrl:1
	v_cndmask_b32_e32 v8, v18, v8, vcc
	v_cmp_gt_f32_e32 vcc, v15, v19
	v_cndmask_b32_e32 v15, v19, v15, vcc
	v_mov_b32_dpp v18, v8 row_ror:8 row_mask:0xf bank_mask:0xf bound_ctrl:1
	v_cmp_gt_f32_e32 vcc, v8, v18
	v_mov_b32_dpp v19, v15 row_ror:8 row_mask:0xf bank_mask:0xf bound_ctrl:1
	v_cndmask_b32_e32 v8, v18, v8, vcc
	v_cmp_gt_f32_e32 vcc, v15, v19
	v_div_fixup_f32 v7, v14, s12, v7
	v_cndmask_b32_e32 v15, v19, v15, vcc
	v_add_f32_e32 v19, s8, v7
	v_div_scale_f32 v14, s[0:1], v19, v19, v11
	v_mov_b32_dpp v18, v8 row_bcast:15 row_mask:0xf bank_mask:0xf bound_ctrl:1
	v_cmp_gt_f32_e32 vcc, v8, v18
	v_cndmask_b32_e32 v8, v18, v8, vcc
	v_div_scale_f32 v18, vcc, v11, v19, v11
	v_mov_b32_dpp v7, v15 row_bcast:15 row_mask:0xf bank_mask:0xf bound_ctrl:1
	v_cmp_gt_f32_e64 s[0:1], v15, v7
	v_cndmask_b32_e64 v7, v7, v15, s[0:1]
	v_mov_b32_dpp v15, v8 row_bcast:31 row_mask:0xf bank_mask:0xf bound_ctrl:1
	v_cmp_gt_f32_e64 s[0:1], v8, v15
	v_cndmask_b32_e64 v8, v15, v8, s[0:1]
	;; [unrolled: 3-line block ×3, first 2 shown]
	ds_bpermute_b32 v7, v17, v8
	ds_bpermute_b32 v8, v17, v15
	v_rcp_f32_e32 v15, v14
	v_fma_f32 v17, -v14, v15, 1.0
	v_fmac_f32_e32 v15, v17, v15
	v_mul_f32_e32 v17, v18, v15
	v_fma_f32 v20, -v14, v17, v18
	v_fmac_f32_e32 v17, v20, v15
	v_fma_f32 v14, -v14, v17, v18
	v_div_fmas_f32 v17, v14, v15, v17
	global_load_dwordx2 v[14:15], v[5:6], off
	v_cmp_eq_u32_e32 vcc, 0, v0
	s_waitcnt vmcnt(0)
	v_fma_f32 v14, s14, v14, -v12
	v_div_fixup_f32 v12, v17, v19, v11
	v_mul_f32_e32 v12, s13, v12
	v_fma_f32 v15, s14, v15, -v12
	global_store_dwordx2 v[5:6], v[14:15], off
	s_and_saveexec_b64 s[0:1], vcc
	s_cbranch_execz .LBB0_3
; %bb.2:
	v_mov_b32_e32 v0, 0
	s_waitcnt lgkmcnt(0)
	global_store_dword v0, v7, s[6:7]
	global_store_dword v0, v8, s[10:11]
	ds_write_b64 v0, v[7:8]
.LBB0_3:
	s_or_b64 exec, exec, s[0:1]
	v_mov_b32_e32 v0, 0
	s_waitcnt vmcnt(0) lgkmcnt(0)
	s_barrier
	ds_read_b32 v8, v0
	s_waitcnt lgkmcnt(0)
	v_div_scale_f32 v5, s[0:1], v8, v8, v13
	v_div_scale_f32 v6, vcc, v13, v8, v13
	s_mov_b32 s0, 0xbf633333
	v_rcp_f32_e32 v7, v5
	v_fma_f32 v12, -v5, v7, 1.0
	v_fmac_f32_e32 v7, v12, v7
	v_mul_f32_e32 v12, v6, v7
	v_fma_f32 v14, -v5, v12, v6
	v_fmac_f32_e32 v12, v14, v7
	v_fma_f32 v5, -v5, v12, v6
	v_div_fmas_f32 v5, v5, v7, v12
	v_mov_b32_e32 v7, 0
	v_div_fixup_f32 v12, v5, v8, v13
	v_cmp_nge_f32_e32 vcc, s0, v12
	s_and_saveexec_b64 s[0:1], vcc
	s_cbranch_execz .LBB0_9
; %bb.4:
	v_cmp_nle_f32_e32 vcc, 1.0, v12
	v_mov_b32_e32 v7, 15
	s_and_saveexec_b64 s[2:3], vcc
	s_cbranch_execz .LBB0_8
; %bb.5:
	v_mov_b32_e32 v6, 0
	v_mov_b32_e32 v13, 15
	s_mov_b64 s[4:5], 0
	v_mov_b32_e32 v7, 0
	s_getpc_b64 s[6:7]
	s_add_u32 s6, s6, _ZL9_exp_qmap@rel32@lo+4
	s_addc_u32 s7, s7, _ZL9_exp_qmap@rel32@hi+12
.LBB0_6:                                ; =>This Inner Loop Header: Depth=1
	v_add_u32_e32 v5, v7, v13
	v_lshrrev_b32_e32 v5, 1, v5
	v_lshlrev_b64 v[14:15], 2, v[5:6]
	v_mov_b32_e32 v16, s7
	v_add_co_u32_e32 v14, vcc, s6, v14
	v_addc_co_u32_e32 v15, vcc, v16, v15, vcc
	global_load_dword v14, v[14:15], off
	v_add_u32_e32 v15, 1, v5
	s_waitcnt vmcnt(0)
	v_cmp_nle_f32_e32 vcc, v14, v12
	v_cndmask_b32_e32 v7, v15, v7, vcc
	v_cndmask_b32_e32 v13, v13, v5, vcc
	v_cmp_ge_i32_e32 vcc, v7, v13
	s_or_b64 s[4:5], vcc, s[4:5]
	s_andn2_b64 exec, exec, s[4:5]
	s_cbranch_execnz .LBB0_6
; %bb.7:
	s_or_b64 exec, exec, s[4:5]
	v_add_u32_e32 v5, -1, v7
	v_ashrrev_i32_e32 v6, 31, v5
	v_lshlrev_b64 v[13:14], 2, v[5:6]
	s_getpc_b64 s[4:5]
	s_add_u32 s4, s4, _ZL11_exp_qmidpt@rel32@lo+4
	s_addc_u32 s5, s5, _ZL11_exp_qmidpt@rel32@hi+12
	v_mov_b32_e32 v6, s5
	v_add_co_u32_e32 v13, vcc, s4, v13
	v_addc_co_u32_e32 v14, vcc, v6, v14, vcc
	global_load_dword v6, v[13:14], off
	s_waitcnt vmcnt(0)
	v_cmp_lt_f32_e32 vcc, v6, v12
	v_cndmask_b32_e32 v5, v5, v7, vcc
	v_and_b32_e32 v7, 15, v5
.LBB0_8:
	s_or_b64 exec, exec, s[2:3]
.LBB0_9:
	s_or_b64 exec, exec, s[0:1]
	ds_read_b32 v12, v0 offset:4
	s_waitcnt lgkmcnt(0)
	v_div_scale_f32 v5, s[0:1], v12, v12, v10
	v_div_scale_f32 v6, vcc, v10, v12, v10
	s_mov_b32 s0, 0x3d800000
	v_rcp_f32_e32 v13, v5
	v_fma_f32 v14, -v5, v13, 1.0
	v_fmac_f32_e32 v13, v14, v13
	v_mul_f32_e32 v14, v6, v13
	v_fma_f32 v15, -v5, v14, v6
	v_fmac_f32_e32 v14, v15, v13
	v_fma_f32 v5, -v5, v14, v6
	v_div_fmas_f32 v5, v5, v13, v14
	v_div_fixup_f32 v10, v5, v12, v10
	v_cmp_nge_f32_e32 vcc, s0, v10
	s_and_saveexec_b64 s[0:1], vcc
	s_cbranch_execz .LBB0_15
; %bb.10:
	v_cmp_nle_f32_e32 vcc, 1.0, v10
	v_mov_b32_e32 v0, 15
	s_and_saveexec_b64 s[2:3], vcc
	s_cbranch_execz .LBB0_14
; %bb.11:
	v_mov_b32_e32 v6, 0
	v_mov_b32_e32 v13, 15
	s_mov_b64 s[4:5], 0
	v_mov_b32_e32 v0, 0
	s_getpc_b64 s[6:7]
	s_add_u32 s6, s6, _ZL8_sq_qmap@rel32@lo+4
	s_addc_u32 s7, s7, _ZL8_sq_qmap@rel32@hi+12
.LBB0_12:                               ; =>This Inner Loop Header: Depth=1
	v_add_u32_e32 v5, v0, v13
	v_lshrrev_b32_e32 v5, 1, v5
	v_lshlrev_b64 v[14:15], 2, v[5:6]
	v_mov_b32_e32 v16, s7
	v_add_co_u32_e32 v14, vcc, s6, v14
	v_addc_co_u32_e32 v15, vcc, v16, v15, vcc
	global_load_dword v14, v[14:15], off
	v_add_u32_e32 v15, 1, v5
	s_waitcnt vmcnt(0)
	v_cmp_nle_f32_e32 vcc, v14, v10
	v_cndmask_b32_e32 v0, v15, v0, vcc
	v_cndmask_b32_e32 v13, v13, v5, vcc
	v_cmp_ge_i32_e32 vcc, v0, v13
	s_or_b64 s[4:5], vcc, s[4:5]
	s_andn2_b64 exec, exec, s[4:5]
	s_cbranch_execnz .LBB0_12
; %bb.13:
	s_or_b64 exec, exec, s[4:5]
	v_add_u32_e32 v5, -1, v0
	v_ashrrev_i32_e32 v6, 31, v5
	v_lshlrev_b64 v[13:14], 2, v[5:6]
	s_getpc_b64 s[4:5]
	s_add_u32 s4, s4, _ZL10_sq_qmidpt@rel32@lo+4
	s_addc_u32 s5, s5, _ZL10_sq_qmidpt@rel32@hi+12
	v_mov_b32_e32 v6, s5
	v_add_co_u32_e32 v13, vcc, s4, v13
	v_addc_co_u32_e32 v14, vcc, v6, v14, vcc
	global_load_dword v6, v[13:14], off
	s_waitcnt vmcnt(0)
	v_cmp_lt_f32_e32 vcc, v6, v10
	v_cndmask_b32_e32 v0, v5, v0, vcc
	v_and_b32_e32 v0, 15, v0
.LBB0_14:
	s_or_b64 exec, exec, s[2:3]
.LBB0_15:
	s_or_b64 exec, exec, s[0:1]
	v_div_scale_f32 v5, s[0:1], v8, v8, v11
	v_div_scale_f32 v6, vcc, v11, v8, v11
	s_mov_b32 s0, 0xbf633333
	v_rcp_f32_e32 v10, v5
	v_fma_f32 v13, -v5, v10, 1.0
	v_fmac_f32_e32 v10, v13, v10
	v_mul_f32_e32 v13, v6, v10
	v_fma_f32 v14, -v5, v13, v6
	v_fmac_f32_e32 v13, v14, v10
	v_fma_f32 v5, -v5, v13, v6
	v_div_fmas_f32 v5, v5, v10, v13
	v_div_fixup_f32 v10, v5, v8, v11
	v_cmp_nge_f32_e32 vcc, s0, v10
	v_cmp_nle_f32_e64 s[0:1], 1.0, v10
	s_and_b64 s[2:3], vcc, s[0:1]
	v_mov_b32_e32 v8, 0
	s_and_saveexec_b64 s[0:1], s[2:3]
	s_cbranch_execz .LBB0_19
; %bb.16:
	v_mov_b32_e32 v6, 0
	v_mov_b32_e32 v11, 15
	s_mov_b64 s[2:3], 0
	v_mov_b32_e32 v8, 0
	s_getpc_b64 s[4:5]
	s_add_u32 s4, s4, _ZL9_exp_qmap@rel32@lo+4
	s_addc_u32 s5, s5, _ZL9_exp_qmap@rel32@hi+12
.LBB0_17:                               ; =>This Inner Loop Header: Depth=1
	v_add_u32_e32 v5, v8, v11
	v_lshrrev_b32_e32 v5, 1, v5
	v_lshlrev_b64 v[13:14], 2, v[5:6]
	v_mov_b32_e32 v15, s5
	v_add_co_u32_e32 v13, vcc, s4, v13
	v_addc_co_u32_e32 v14, vcc, v15, v14, vcc
	global_load_dword v13, v[13:14], off
	v_add_u32_e32 v14, 1, v5
	s_waitcnt vmcnt(0)
	v_cmp_nle_f32_e32 vcc, v13, v10
	v_cndmask_b32_e32 v8, v14, v8, vcc
	v_cndmask_b32_e32 v11, v11, v5, vcc
	v_cmp_ge_i32_e32 vcc, v8, v11
	s_or_b64 s[2:3], vcc, s[2:3]
	s_andn2_b64 exec, exec, s[2:3]
	s_cbranch_execnz .LBB0_17
; %bb.18:
	s_or_b64 exec, exec, s[2:3]
	v_add_u32_e32 v5, -1, v8
	v_ashrrev_i32_e32 v6, 31, v5
	v_lshlrev_b64 v[13:14], 2, v[5:6]
	s_getpc_b64 s[2:3]
	s_add_u32 s2, s2, _ZL11_exp_qmidpt@rel32@lo+4
	s_addc_u32 s3, s3, _ZL11_exp_qmidpt@rel32@hi+12
	v_mov_b32_e32 v6, s3
	v_add_co_u32_e32 v13, vcc, s2, v13
	v_addc_co_u32_e32 v14, vcc, v6, v14, vcc
	global_load_dword v6, v[13:14], off
	s_waitcnt vmcnt(0)
	v_cmp_lt_f32_e32 vcc, v6, v10
	v_cndmask_b32_e32 v5, v5, v8, vcc
	v_and_b32_e32 v8, 0xf0, v5
.LBB0_19:
	s_or_b64 exec, exec, s[0:1]
	v_div_scale_f32 v5, s[0:1], v12, v12, v9
	v_div_scale_f32 v6, vcc, v9, v12, v9
	s_mov_b32 s0, 0x3d800000
	v_rcp_f32_e32 v10, v5
	v_fma_f32 v11, -v5, v10, 1.0
	v_fmac_f32_e32 v10, v11, v10
	v_mul_f32_e32 v11, v6, v10
	v_fma_f32 v13, -v5, v11, v6
	v_fmac_f32_e32 v11, v13, v10
	v_fma_f32 v5, -v5, v11, v6
	v_div_fmas_f32 v5, v5, v10, v11
	v_div_fixup_f32 v9, v5, v12, v9
	v_cmp_nge_f32_e32 vcc, s0, v9
	v_cmp_nle_f32_e64 s[0:1], 1.0, v9
	s_and_b64 s[2:3], vcc, s[0:1]
	v_mov_b32_e32 v5, 0
	s_and_saveexec_b64 s[0:1], s[2:3]
	s_cbranch_execz .LBB0_23
; %bb.20:
	v_mov_b32_e32 v6, 0
	v_mov_b32_e32 v11, 15
	s_mov_b64 s[2:3], 0
	v_mov_b32_e32 v10, 0
	s_getpc_b64 s[4:5]
	s_add_u32 s4, s4, _ZL8_sq_qmap@rel32@lo+4
	s_addc_u32 s5, s5, _ZL8_sq_qmap@rel32@hi+12
.LBB0_21:                               ; =>This Inner Loop Header: Depth=1
	v_add_u32_e32 v5, v10, v11
	v_lshrrev_b32_e32 v5, 1, v5
	v_lshlrev_b64 v[12:13], 2, v[5:6]
	v_mov_b32_e32 v14, s5
	v_add_co_u32_e32 v12, vcc, s4, v12
	v_addc_co_u32_e32 v13, vcc, v14, v13, vcc
	global_load_dword v12, v[12:13], off
	v_add_u32_e32 v13, 1, v5
	s_waitcnt vmcnt(0)
	v_cmp_nle_f32_e32 vcc, v12, v9
	v_cndmask_b32_e32 v10, v13, v10, vcc
	v_cndmask_b32_e32 v11, v11, v5, vcc
	v_cmp_ge_i32_e32 vcc, v10, v11
	s_or_b64 s[2:3], vcc, s[2:3]
	s_andn2_b64 exec, exec, s[2:3]
	s_cbranch_execnz .LBB0_21
; %bb.22:
	s_or_b64 exec, exec, s[2:3]
	v_add_u32_e32 v5, -1, v10
	v_ashrrev_i32_e32 v6, 31, v5
	v_lshlrev_b64 v[11:12], 2, v[5:6]
	s_getpc_b64 s[2:3]
	s_add_u32 s2, s2, _ZL10_sq_qmidpt@rel32@lo+4
	s_addc_u32 s3, s3, _ZL10_sq_qmidpt@rel32@hi+12
	v_mov_b32_e32 v6, s3
	v_add_co_u32_e32 v11, vcc, s2, v11
	v_addc_co_u32_e32 v12, vcc, v6, v12, vcc
	global_load_dword v6, v[11:12], off
	s_waitcnt vmcnt(0)
	v_cmp_lt_f32_e32 vcc, v6, v9
	v_cndmask_b32_e32 v5, v5, v10, vcc
	v_and_b32_e32 v5, 0xf0, v5
.LBB0_23:
	s_or_b64 exec, exec, s[0:1]
	v_or_b32_e32 v6, v8, v7
	v_or_b32_e32 v0, v5, v0
	global_store_byte v[3:4], v6, off
	global_store_byte v[1:2], v0, off
.LBB0_24:
	s_endpgm
	.section	.rodata,"a",@progbits
	.p2align	6, 0x0
	.amdhsa_kernel _Z17fused_4bit_kernelIfLi64EEvPT_PKS0_S1_S1_PaS4_fffffflffffff
		.amdhsa_group_segment_fixed_size 8
		.amdhsa_private_segment_fixed_size 0
		.amdhsa_kernarg_size 360
		.amdhsa_user_sgpr_count 6
		.amdhsa_user_sgpr_private_segment_buffer 1
		.amdhsa_user_sgpr_dispatch_ptr 0
		.amdhsa_user_sgpr_queue_ptr 0
		.amdhsa_user_sgpr_kernarg_segment_ptr 1
		.amdhsa_user_sgpr_dispatch_id 0
		.amdhsa_user_sgpr_flat_scratch_init 0
		.amdhsa_user_sgpr_private_segment_size 0
		.amdhsa_uses_dynamic_stack 0
		.amdhsa_system_sgpr_private_segment_wavefront_offset 0
		.amdhsa_system_sgpr_workgroup_id_x 1
		.amdhsa_system_sgpr_workgroup_id_y 0
		.amdhsa_system_sgpr_workgroup_id_z 0
		.amdhsa_system_sgpr_workgroup_info 0
		.amdhsa_system_vgpr_workitem_id 0
		.amdhsa_next_free_vgpr 23
		.amdhsa_next_free_sgpr 23
		.amdhsa_reserve_vcc 1
		.amdhsa_reserve_flat_scratch 0
		.amdhsa_float_round_mode_32 0
		.amdhsa_float_round_mode_16_64 0
		.amdhsa_float_denorm_mode_32 3
		.amdhsa_float_denorm_mode_16_64 3
		.amdhsa_dx10_clamp 1
		.amdhsa_ieee_mode 1
		.amdhsa_fp16_overflow 0
		.amdhsa_exception_fp_ieee_invalid_op 0
		.amdhsa_exception_fp_denorm_src 0
		.amdhsa_exception_fp_ieee_div_zero 0
		.amdhsa_exception_fp_ieee_overflow 0
		.amdhsa_exception_fp_ieee_underflow 0
		.amdhsa_exception_fp_ieee_inexact 0
		.amdhsa_exception_int_div_zero 0
	.end_amdhsa_kernel
	.section	.text._Z17fused_4bit_kernelIfLi64EEvPT_PKS0_S1_S1_PaS4_fffffflffffff,"axG",@progbits,_Z17fused_4bit_kernelIfLi64EEvPT_PKS0_S1_S1_PaS4_fffffflffffff,comdat
.Lfunc_end0:
	.size	_Z17fused_4bit_kernelIfLi64EEvPT_PKS0_S1_S1_PaS4_fffffflffffff, .Lfunc_end0-_Z17fused_4bit_kernelIfLi64EEvPT_PKS0_S1_S1_PaS4_fffffflffffff
                                        ; -- End function
	.set _Z17fused_4bit_kernelIfLi64EEvPT_PKS0_S1_S1_PaS4_fffffflffffff.num_vgpr, 23
	.set _Z17fused_4bit_kernelIfLi64EEvPT_PKS0_S1_S1_PaS4_fffffflffffff.num_agpr, 0
	.set _Z17fused_4bit_kernelIfLi64EEvPT_PKS0_S1_S1_PaS4_fffffflffffff.numbered_sgpr, 23
	.set _Z17fused_4bit_kernelIfLi64EEvPT_PKS0_S1_S1_PaS4_fffffflffffff.num_named_barrier, 0
	.set _Z17fused_4bit_kernelIfLi64EEvPT_PKS0_S1_S1_PaS4_fffffflffffff.private_seg_size, 0
	.set _Z17fused_4bit_kernelIfLi64EEvPT_PKS0_S1_S1_PaS4_fffffflffffff.uses_vcc, 1
	.set _Z17fused_4bit_kernelIfLi64EEvPT_PKS0_S1_S1_PaS4_fffffflffffff.uses_flat_scratch, 0
	.set _Z17fused_4bit_kernelIfLi64EEvPT_PKS0_S1_S1_PaS4_fffffflffffff.has_dyn_sized_stack, 0
	.set _Z17fused_4bit_kernelIfLi64EEvPT_PKS0_S1_S1_PaS4_fffffflffffff.has_recursion, 0
	.set _Z17fused_4bit_kernelIfLi64EEvPT_PKS0_S1_S1_PaS4_fffffflffffff.has_indirect_call, 0
	.section	.AMDGPU.csdata,"",@progbits
; Kernel info:
; codeLenInByte = 2580
; TotalNumSgprs: 27
; NumVgprs: 23
; ScratchSize: 0
; MemoryBound: 0
; FloatMode: 240
; IeeeMode: 1
; LDSByteSize: 8 bytes/workgroup (compile time only)
; SGPRBlocks: 3
; VGPRBlocks: 5
; NumSGPRsForWavesPerEU: 27
; NumVGPRsForWavesPerEU: 23
; Occupancy: 10
; WaveLimiterHint : 0
; COMPUTE_PGM_RSRC2:SCRATCH_EN: 0
; COMPUTE_PGM_RSRC2:USER_SGPR: 6
; COMPUTE_PGM_RSRC2:TRAP_HANDLER: 0
; COMPUTE_PGM_RSRC2:TGID_X_EN: 1
; COMPUTE_PGM_RSRC2:TGID_Y_EN: 0
; COMPUTE_PGM_RSRC2:TGID_Z_EN: 0
; COMPUTE_PGM_RSRC2:TIDIG_COMP_CNT: 0
	.section	.AMDGPU.gpr_maximums,"",@progbits
	.set amdgpu.max_num_vgpr, 0
	.set amdgpu.max_num_agpr, 0
	.set amdgpu.max_num_sgpr, 0
	.section	.AMDGPU.csdata,"",@progbits
	.type	_ZL9_exp_qmap,@object           ; @_ZL9_exp_qmap
	.section	.rodata,"a",@progbits
	.p2align	4, 0x0
_ZL9_exp_qmap:
	.long	0xbf633333                      ; float -0.887499988
	.long	0xbf29999a                      ; float -0.662500024
	;; [unrolled: 1-line block ×7, first 2 shown]
	.long	0x00000000                      ; float 0
	.long	0x3bb43958                      ; float 0.00549999997
	.long	0x3d051eb8                      ; float 0.0324999988
	;; [unrolled: 1-line block ×7, first 2 shown]
	.long	0x3f800000                      ; float 1
	.size	_ZL9_exp_qmap, 64

	.type	_ZL8_sq_qmap,@object            ; @_ZL8_sq_qmap
	.p2align	4, 0x0
_ZL8_sq_qmap:
	.long	0x3d800000                      ; float 0.0625
	.long	0x3e000000                      ; float 0.125
	;; [unrolled: 1-line block ×15, first 2 shown]
	.long	0x3f800000                      ; float 1
	.size	_ZL8_sq_qmap, 64

	.type	_ZL11_exp_qmidpt,@object        ; @_ZL11_exp_qmidpt
	.p2align	4, 0x0
_ZL11_exp_qmidpt:
	.long	0xbf466666                      ; float -0.774999976
	.long	0xbf0ccccd                      ; float -0.550000012
	;; [unrolled: 1-line block ×7, first 2 shown]
	.long	0x3b343958                      ; float 0.00274999999
	.long	0x3c9ba5e3                      ; float 0.0189999994
	;; [unrolled: 1-line block ×8, first 2 shown]
	.size	_ZL11_exp_qmidpt, 60

	.type	_ZL10_sq_qmidpt,@object         ; @_ZL10_sq_qmidpt
	.p2align	4, 0x0
_ZL10_sq_qmidpt:
	.long	0x3dc00000                      ; float 0.09375
	.long	0x3e200000                      ; float 0.15625
	.long	0x3e600000                      ; float 0.21875
	.long	0x3e900000                      ; float 0.28125
	.long	0x3eb00000                      ; float 0.34375
	.long	0x3ed00000                      ; float 0.40625
	.long	0x3ef00000                      ; float 0.46875
	.long	0x3f080000                      ; float 0.53125
	.long	0x3f180000                      ; float 0.59375
	.long	0x3f280000                      ; float 0.65625
	.long	0x3f380000                      ; float 0.71875
	.long	0x3f480000                      ; float 0.78125
	.long	0x3f580000                      ; float 0.84375
	.long	0x3f680000                      ; float 0.90625
	.long	0x3f780000                      ; float 0.96875
	.size	_ZL10_sq_qmidpt, 60

	.type	__hip_cuid_8a79f55ec501b268,@object ; @__hip_cuid_8a79f55ec501b268
	.section	.bss,"aw",@nobits
	.globl	__hip_cuid_8a79f55ec501b268
__hip_cuid_8a79f55ec501b268:
	.byte	0                               ; 0x0
	.size	__hip_cuid_8a79f55ec501b268, 1

	.ident	"AMD clang version 22.0.0git (https://github.com/RadeonOpenCompute/llvm-project roc-7.2.4 26084 f58b06dce1f9c15707c5f808fd002e18c2accf7e)"
	.section	".note.GNU-stack","",@progbits
	.addrsig
	.addrsig_sym __hip_cuid_8a79f55ec501b268
	.amdgpu_metadata
---
amdhsa.kernels:
  - .args:
      - .address_space:  global
        .offset:         0
        .size:           8
        .value_kind:     global_buffer
      - .actual_access:  read_only
        .address_space:  global
        .offset:         8
        .size:           8
        .value_kind:     global_buffer
      - .address_space:  global
        .offset:         16
        .size:           8
        .value_kind:     global_buffer
      - .address_space:  global
        .offset:         24
        .size:           8
        .value_kind:     global_buffer
      - .address_space:  global
        .offset:         32
        .size:           8
        .value_kind:     global_buffer
      - .address_space:  global
        .offset:         40
        .size:           8
        .value_kind:     global_buffer
      - .offset:         48
        .size:           4
        .value_kind:     by_value
      - .offset:         52
        .size:           4
        .value_kind:     by_value
      - .offset:         56
        .size:           4
        .value_kind:     by_value
      - .offset:         60
        .size:           4
        .value_kind:     by_value
      - .offset:         64
        .size:           4
        .value_kind:     by_value
      - .offset:         68
        .size:           4
        .value_kind:     by_value
      - .offset:         72
        .size:           8
        .value_kind:     by_value
      - .offset:         80
        .size:           4
        .value_kind:     by_value
      - .offset:         84
        .size:           4
        .value_kind:     by_value
      - .offset:         88
        .size:           4
        .value_kind:     by_value
      - .offset:         92
        .size:           4
        .value_kind:     by_value
      - .offset:         96
        .size:           4
        .value_kind:     by_value
      - .offset:         100
        .size:           4
        .value_kind:     by_value
      - .offset:         104
        .size:           4
        .value_kind:     hidden_block_count_x
      - .offset:         108
        .size:           4
        .value_kind:     hidden_block_count_y
      - .offset:         112
        .size:           4
        .value_kind:     hidden_block_count_z
      - .offset:         116
        .size:           2
        .value_kind:     hidden_group_size_x
      - .offset:         118
        .size:           2
        .value_kind:     hidden_group_size_y
      - .offset:         120
        .size:           2
        .value_kind:     hidden_group_size_z
      - .offset:         122
        .size:           2
        .value_kind:     hidden_remainder_x
      - .offset:         124
        .size:           2
        .value_kind:     hidden_remainder_y
      - .offset:         126
        .size:           2
        .value_kind:     hidden_remainder_z
      - .offset:         144
        .size:           8
        .value_kind:     hidden_global_offset_x
      - .offset:         152
        .size:           8
        .value_kind:     hidden_global_offset_y
      - .offset:         160
        .size:           8
        .value_kind:     hidden_global_offset_z
      - .offset:         168
        .size:           2
        .value_kind:     hidden_grid_dims
    .group_segment_fixed_size: 8
    .kernarg_segment_align: 8
    .kernarg_segment_size: 360
    .language:       OpenCL C
    .language_version:
      - 2
      - 0
    .max_flat_workgroup_size: 1024
    .name:           _Z17fused_4bit_kernelIfLi64EEvPT_PKS0_S1_S1_PaS4_fffffflffffff
    .private_segment_fixed_size: 0
    .sgpr_count:     27
    .sgpr_spill_count: 0
    .symbol:         _Z17fused_4bit_kernelIfLi64EEvPT_PKS0_S1_S1_PaS4_fffffflffffff.kd
    .uniform_work_group_size: 1
    .uses_dynamic_stack: false
    .vgpr_count:     23
    .vgpr_spill_count: 0
    .wavefront_size: 64
amdhsa.target:   amdgcn-amd-amdhsa--gfx906
amdhsa.version:
  - 1
  - 2
...

	.end_amdgpu_metadata
